;; amdgpu-corpus repo=ROCm/rocFFT kind=compiled arch=gfx1030 opt=O3
	.text
	.amdgcn_target "amdgcn-amd-amdhsa--gfx1030"
	.amdhsa_code_object_version 6
	.protected	fft_rtc_back_len1200_factors_5_5_16_3_wgs_225_tpt_75_halfLds_sp_ip_CI_unitstride_sbrr_R2C_dirReg ; -- Begin function fft_rtc_back_len1200_factors_5_5_16_3_wgs_225_tpt_75_halfLds_sp_ip_CI_unitstride_sbrr_R2C_dirReg
	.globl	fft_rtc_back_len1200_factors_5_5_16_3_wgs_225_tpt_75_halfLds_sp_ip_CI_unitstride_sbrr_R2C_dirReg
	.p2align	8
	.type	fft_rtc_back_len1200_factors_5_5_16_3_wgs_225_tpt_75_halfLds_sp_ip_CI_unitstride_sbrr_R2C_dirReg,@function
fft_rtc_back_len1200_factors_5_5_16_3_wgs_225_tpt_75_halfLds_sp_ip_CI_unitstride_sbrr_R2C_dirReg: ; @fft_rtc_back_len1200_factors_5_5_16_3_wgs_225_tpt_75_halfLds_sp_ip_CI_unitstride_sbrr_R2C_dirReg
; %bb.0:
	s_load_dwordx4 s[8:11], s[4:5], 0x0
	v_mul_u32_u24_e32 v1, 0x36a, v0
	s_clause 0x1
	s_load_dwordx2 s[2:3], s[4:5], 0x50
	s_load_dwordx2 s[12:13], s[4:5], 0x18
	v_mov_b32_e32 v5, 0
	v_mov_b32_e32 v3, 0
	;; [unrolled: 1-line block ×3, first 2 shown]
	v_lshrrev_b32_e32 v1, 16, v1
	v_mad_u64_u32 v[1:2], null, s6, 3, v[1:2]
	v_mov_b32_e32 v2, v5
	v_mov_b32_e32 v10, v2
	;; [unrolled: 1-line block ×3, first 2 shown]
	s_waitcnt lgkmcnt(0)
	v_cmp_lt_u64_e64 s0, s[10:11], 2
	s_and_b32 vcc_lo, exec_lo, s0
	s_cbranch_vccnz .LBB0_8
; %bb.1:
	s_load_dwordx2 s[0:1], s[4:5], 0x10
	v_mov_b32_e32 v3, 0
	v_mov_b32_e32 v8, v2
	s_add_u32 s6, s12, 8
	v_mov_b32_e32 v4, 0
	v_mov_b32_e32 v7, v1
	s_addc_u32 s7, s13, 0
	s_mov_b64 s[16:17], 1
	s_waitcnt lgkmcnt(0)
	s_add_u32 s14, s0, 8
	s_addc_u32 s15, s1, 0
.LBB0_2:                                ; =>This Inner Loop Header: Depth=1
	s_load_dwordx2 s[18:19], s[14:15], 0x0
                                        ; implicit-def: $vgpr9_vgpr10
	s_mov_b32 s0, exec_lo
	s_waitcnt lgkmcnt(0)
	v_or_b32_e32 v6, s19, v8
	v_cmpx_ne_u64_e32 0, v[5:6]
	s_xor_b32 s1, exec_lo, s0
	s_cbranch_execz .LBB0_4
; %bb.3:                                ;   in Loop: Header=BB0_2 Depth=1
	v_cvt_f32_u32_e32 v2, s18
	v_cvt_f32_u32_e32 v6, s19
	s_sub_u32 s0, 0, s18
	s_subb_u32 s20, 0, s19
	v_fmac_f32_e32 v2, 0x4f800000, v6
	v_rcp_f32_e32 v2, v2
	v_mul_f32_e32 v2, 0x5f7ffffc, v2
	v_mul_f32_e32 v6, 0x2f800000, v2
	v_trunc_f32_e32 v6, v6
	v_fmac_f32_e32 v2, 0xcf800000, v6
	v_cvt_u32_f32_e32 v6, v6
	v_cvt_u32_f32_e32 v2, v2
	v_mul_lo_u32 v9, s0, v6
	v_mul_hi_u32 v10, s0, v2
	v_mul_lo_u32 v11, s20, v2
	v_add_nc_u32_e32 v9, v10, v9
	v_mul_lo_u32 v10, s0, v2
	v_add_nc_u32_e32 v9, v9, v11
	v_mul_hi_u32 v11, v2, v10
	v_mul_lo_u32 v12, v2, v9
	v_mul_hi_u32 v13, v2, v9
	v_mul_hi_u32 v14, v6, v10
	v_mul_lo_u32 v10, v6, v10
	v_mul_hi_u32 v15, v6, v9
	v_mul_lo_u32 v9, v6, v9
	v_add_co_u32 v11, vcc_lo, v11, v12
	v_add_co_ci_u32_e32 v12, vcc_lo, 0, v13, vcc_lo
	v_add_co_u32 v10, vcc_lo, v11, v10
	v_add_co_ci_u32_e32 v10, vcc_lo, v12, v14, vcc_lo
	v_add_co_ci_u32_e32 v11, vcc_lo, 0, v15, vcc_lo
	v_add_co_u32 v9, vcc_lo, v10, v9
	v_add_co_ci_u32_e32 v10, vcc_lo, 0, v11, vcc_lo
	v_add_co_u32 v2, vcc_lo, v2, v9
	v_add_co_ci_u32_e32 v6, vcc_lo, v6, v10, vcc_lo
	v_mul_hi_u32 v9, s0, v2
	v_mul_lo_u32 v11, s20, v2
	v_mul_lo_u32 v10, s0, v6
	v_add_nc_u32_e32 v9, v9, v10
	v_mul_lo_u32 v10, s0, v2
	v_add_nc_u32_e32 v9, v9, v11
	v_mul_hi_u32 v11, v2, v10
	v_mul_lo_u32 v12, v2, v9
	v_mul_hi_u32 v13, v2, v9
	v_mul_hi_u32 v14, v6, v10
	v_mul_lo_u32 v10, v6, v10
	v_mul_hi_u32 v15, v6, v9
	v_mul_lo_u32 v9, v6, v9
	v_add_co_u32 v11, vcc_lo, v11, v12
	v_add_co_ci_u32_e32 v12, vcc_lo, 0, v13, vcc_lo
	v_add_co_u32 v10, vcc_lo, v11, v10
	v_add_co_ci_u32_e32 v10, vcc_lo, v12, v14, vcc_lo
	v_add_co_ci_u32_e32 v11, vcc_lo, 0, v15, vcc_lo
	v_add_co_u32 v9, vcc_lo, v10, v9
	v_add_co_ci_u32_e32 v10, vcc_lo, 0, v11, vcc_lo
	v_add_co_u32 v2, vcc_lo, v2, v9
	v_add_co_ci_u32_e32 v6, vcc_lo, v6, v10, vcc_lo
	v_mul_hi_u32 v15, v7, v2
	v_mad_u64_u32 v[11:12], null, v8, v2, 0
	v_mad_u64_u32 v[9:10], null, v7, v6, 0
	v_mad_u64_u32 v[13:14], null, v8, v6, 0
	v_add_co_u32 v2, vcc_lo, v15, v9
	v_add_co_ci_u32_e32 v6, vcc_lo, 0, v10, vcc_lo
	v_add_co_u32 v2, vcc_lo, v2, v11
	v_add_co_ci_u32_e32 v2, vcc_lo, v6, v12, vcc_lo
	v_add_co_ci_u32_e32 v6, vcc_lo, 0, v14, vcc_lo
	v_add_co_u32 v2, vcc_lo, v2, v13
	v_add_co_ci_u32_e32 v6, vcc_lo, 0, v6, vcc_lo
	v_mul_lo_u32 v11, s19, v2
	v_mad_u64_u32 v[9:10], null, s18, v2, 0
	v_mul_lo_u32 v12, s18, v6
	v_sub_co_u32 v9, vcc_lo, v7, v9
	v_add3_u32 v10, v10, v12, v11
	v_sub_nc_u32_e32 v11, v8, v10
	v_subrev_co_ci_u32_e64 v11, s0, s19, v11, vcc_lo
	v_add_co_u32 v12, s0, v2, 2
	v_add_co_ci_u32_e64 v13, s0, 0, v6, s0
	v_sub_co_u32 v14, s0, v9, s18
	v_sub_co_ci_u32_e32 v10, vcc_lo, v8, v10, vcc_lo
	v_subrev_co_ci_u32_e64 v11, s0, 0, v11, s0
	v_cmp_le_u32_e32 vcc_lo, s18, v14
	v_cmp_eq_u32_e64 s0, s19, v10
	v_cndmask_b32_e64 v14, 0, -1, vcc_lo
	v_cmp_le_u32_e32 vcc_lo, s19, v11
	v_cndmask_b32_e64 v15, 0, -1, vcc_lo
	v_cmp_le_u32_e32 vcc_lo, s18, v9
	;; [unrolled: 2-line block ×3, first 2 shown]
	v_cndmask_b32_e64 v16, 0, -1, vcc_lo
	v_cmp_eq_u32_e32 vcc_lo, s19, v11
	v_cndmask_b32_e64 v9, v16, v9, s0
	v_cndmask_b32_e32 v11, v15, v14, vcc_lo
	v_add_co_u32 v14, vcc_lo, v2, 1
	v_add_co_ci_u32_e32 v15, vcc_lo, 0, v6, vcc_lo
	v_cmp_ne_u32_e32 vcc_lo, 0, v11
	v_cndmask_b32_e32 v10, v15, v13, vcc_lo
	v_cndmask_b32_e32 v11, v14, v12, vcc_lo
	v_cmp_ne_u32_e32 vcc_lo, 0, v9
	v_cndmask_b32_e32 v10, v6, v10, vcc_lo
	v_cndmask_b32_e32 v9, v2, v11, vcc_lo
.LBB0_4:                                ;   in Loop: Header=BB0_2 Depth=1
	s_andn2_saveexec_b32 s0, s1
	s_cbranch_execz .LBB0_6
; %bb.5:                                ;   in Loop: Header=BB0_2 Depth=1
	v_cvt_f32_u32_e32 v2, s18
	s_sub_i32 s1, 0, s18
	v_rcp_iflag_f32_e32 v2, v2
	v_mul_f32_e32 v2, 0x4f7ffffe, v2
	v_cvt_u32_f32_e32 v2, v2
	v_mul_lo_u32 v6, s1, v2
	v_mul_hi_u32 v6, v2, v6
	v_add_nc_u32_e32 v2, v2, v6
	v_mul_hi_u32 v2, v7, v2
	v_mul_lo_u32 v6, v2, s18
	v_add_nc_u32_e32 v9, 1, v2
	v_sub_nc_u32_e32 v6, v7, v6
	v_subrev_nc_u32_e32 v10, s18, v6
	v_cmp_le_u32_e32 vcc_lo, s18, v6
	v_cndmask_b32_e32 v6, v6, v10, vcc_lo
	v_cndmask_b32_e32 v2, v2, v9, vcc_lo
	v_mov_b32_e32 v10, v5
	v_cmp_le_u32_e32 vcc_lo, s18, v6
	v_add_nc_u32_e32 v9, 1, v2
	v_cndmask_b32_e32 v9, v2, v9, vcc_lo
.LBB0_6:                                ;   in Loop: Header=BB0_2 Depth=1
	s_or_b32 exec_lo, exec_lo, s0
	s_load_dwordx2 s[0:1], s[6:7], 0x0
	v_mul_lo_u32 v2, v10, s18
	v_mul_lo_u32 v6, v9, s19
	v_mad_u64_u32 v[11:12], null, v9, s18, 0
	s_add_u32 s16, s16, 1
	s_addc_u32 s17, s17, 0
	s_add_u32 s6, s6, 8
	s_addc_u32 s7, s7, 0
	;; [unrolled: 2-line block ×3, first 2 shown]
	v_add3_u32 v2, v12, v6, v2
	v_sub_co_u32 v6, vcc_lo, v7, v11
	v_sub_co_ci_u32_e32 v2, vcc_lo, v8, v2, vcc_lo
	s_waitcnt lgkmcnt(0)
	v_mul_lo_u32 v7, s1, v6
	v_mul_lo_u32 v2, s0, v2
	v_mad_u64_u32 v[3:4], null, s0, v6, v[3:4]
	v_cmp_ge_u64_e64 s0, s[16:17], s[10:11]
	s_and_b32 vcc_lo, exec_lo, s0
	v_add3_u32 v4, v7, v4, v2
	s_cbranch_vccnz .LBB0_8
; %bb.7:                                ;   in Loop: Header=BB0_2 Depth=1
	v_mov_b32_e32 v7, v9
	v_mov_b32_e32 v8, v10
	s_branch .LBB0_2
.LBB0_8:
	s_lshl_b64 s[0:1], s[10:11], 3
	v_mul_hi_u32 v2, 0xaaaaaaab, v1
	s_add_u32 s0, s12, s0
	s_addc_u32 s1, s13, s1
	v_mul_hi_u32 v5, 0x369d037, v0
	s_load_dwordx2 s[0:1], s[0:1], 0x0
	s_load_dwordx2 s[4:5], s[4:5], 0x20
	v_lshrrev_b32_e32 v2, 1, v2
	v_mul_u32_u24_e32 v5, 0x4b, v5
	v_lshl_add_u32 v6, v2, 1, v2
	v_sub_nc_u32_e32 v28, v0, v5
	v_sub_nc_u32_e32 v0, v1, v6
	v_add_nc_u32_e32 v30, 0x4b, v28
	v_add_nc_u32_e32 v36, 0x96, v28
	;; [unrolled: 1-line block ×3, first 2 shown]
	s_waitcnt lgkmcnt(0)
	v_mul_lo_u32 v5, s0, v10
	v_mul_lo_u32 v7, s1, v9
	v_mad_u64_u32 v[2:3], null, s0, v9, v[3:4]
	v_cmp_gt_u64_e32 vcc_lo, s[4:5], v[9:10]
	v_cmp_le_u64_e64 s0, s[4:5], v[9:10]
	v_add3_u32 v3, v7, v3, v5
	s_and_saveexec_b32 s1, s0
	s_xor_b32 s0, exec_lo, s1
; %bb.9:
	v_add_nc_u32_e32 v30, 0x4b, v28
	v_add_nc_u32_e32 v36, 0x96, v28
	;; [unrolled: 1-line block ×3, first 2 shown]
; %bb.10:
	s_or_saveexec_b32 s1, s0
	v_mul_u32_u24_e32 v35, 0x4b1, v0
	v_lshlrev_b64 v[32:33], 3, v[2:3]
	v_lshlrev_b32_e32 v31, 3, v28
	v_lshlrev_b32_e32 v54, 3, v35
	s_xor_b32 exec_lo, exec_lo, s1
	s_cbranch_execz .LBB0_12
; %bb.11:
	v_mov_b32_e32 v29, 0
	v_add_co_u32 v2, s0, s2, v32
	v_add_co_ci_u32_e64 v3, s0, s3, v33, s0
	v_lshlrev_b64 v[0:1], 3, v[28:29]
	v_add3_u32 v29, 0, v54, v31
	v_add_nc_u32_e32 v41, 0x800, v29
	v_add_co_u32 v0, s0, v2, v0
	v_add_co_ci_u32_e64 v1, s0, v3, v1, s0
	v_add_nc_u32_e32 v42, 0xc00, v29
	v_add_co_u32 v2, s0, 0x800, v0
	v_add_co_ci_u32_e64 v3, s0, 0, v1, s0
	v_add_co_u32 v4, s0, 0x1000, v0
	v_add_co_ci_u32_e64 v5, s0, 0, v1, s0
	;; [unrolled: 2-line block ×3, first 2 shown]
	s_clause 0x7
	global_load_dwordx2 v[6:7], v[0:1], off
	global_load_dwordx2 v[8:9], v[0:1], off offset:600
	global_load_dwordx2 v[10:11], v[0:1], off offset:1200
	;; [unrolled: 1-line block ×7, first 2 shown]
	v_add_co_u32 v0, s0, 0x2000, v0
	v_add_co_ci_u32_e64 v1, s0, 0, v1, s0
	s_clause 0x7
	global_load_dwordx2 v[22:23], v[4:5], off offset:704
	global_load_dwordx2 v[24:25], v[4:5], off offset:1304
	;; [unrolled: 1-line block ×8, first 2 shown]
	v_add_nc_u32_e32 v43, 0x1000, v29
	v_add_nc_u32_e32 v44, 0x1400, v29
	;; [unrolled: 1-line block ×4, first 2 shown]
	s_waitcnt vmcnt(14)
	ds_write2_b64 v29, v[6:7], v[8:9] offset1:75
	s_waitcnt vmcnt(12)
	ds_write2_b64 v29, v[10:11], v[12:13] offset0:150 offset1:225
	s_waitcnt vmcnt(10)
	ds_write2_b64 v41, v[14:15], v[16:17] offset0:44 offset1:119
	;; [unrolled: 2-line block ×7, first 2 shown]
.LBB0_12:
	s_or_b32 exec_lo, exec_lo, s1
	v_add_nc_u32_e32 v53, 0, v31
	s_waitcnt lgkmcnt(0)
	s_barrier
	buffer_gl0_inv
	v_add_nc_u32_e32 v52, 0, v54
	v_add_nc_u32_e32 v29, v53, v54
	v_cmp_gt_u32_e64 s0, 15, v28
	v_add_nc_u32_e32 v51, v52, v31
	v_add_nc_u32_e32 v8, 0x800, v29
	;; [unrolled: 1-line block ×5, first 2 shown]
	ds_read2_b64 v[4:7], v29 offset0:75 offset1:150
	ds_read2_b64 v[15:18], v8 offset0:59 offset1:134
	;; [unrolled: 1-line block ×5, first 2 shown]
	v_mad_u32_u24 v92, v28, 40, v52
	s_waitcnt lgkmcnt(3)
	v_add_f32_e32 v0, v4, v15
	v_add_f32_e32 v1, v5, v16
	v_add_f32_e32 v2, v6, v17
	v_add_f32_e32 v3, v7, v18
	s_waitcnt lgkmcnt(1)
	v_add_f32_e32 v11, v19, v23
	s_waitcnt lgkmcnt(0)
	v_sub_f32_e32 v27, v16, v38
	v_sub_f32_e32 v50, v15, v19
	v_add_f32_e32 v60, v15, v37
	v_sub_f32_e32 v61, v19, v15
	v_sub_f32_e32 v64, v15, v37
	;; [unrolled: 1-line block ×4, first 2 shown]
	v_add_f32_e32 v68, v16, v38
	v_sub_f32_e32 v69, v20, v16
	v_add_f32_e32 v9, v0, v19
	v_add_f32_e32 v15, v1, v20
	;; [unrolled: 1-line block ×4, first 2 shown]
	ds_read2_b64 v[0:3], v29 offset0:225 offset1:240
	ds_read2_b64 v[41:44], v8 offset0:209 offset1:224
	;; [unrolled: 1-line block ×4, first 2 shown]
	v_sub_f32_e32 v49, v20, v24
	v_add_f32_e32 v63, v20, v24
	v_add_f32_e32 v20, v9, v23
	ds_read_b64 v[9:10], v51
	v_add_f32_e32 v70, v21, v25
	v_sub_f32_e32 v72, v17, v21
	v_sub_f32_e32 v73, v21, v17
	;; [unrolled: 1-line block ×3, first 2 shown]
	v_add_f32_e32 v21, v15, v24
	v_sub_f32_e32 v71, v22, v26
	v_add_f32_e32 v74, v22, v26
	v_sub_f32_e32 v76, v18, v22
	v_sub_f32_e32 v77, v22, v18
	;; [unrolled: 1-line block ×3, first 2 shown]
	v_add_f32_e32 v79, v17, v39
	v_sub_f32_e32 v80, v17, v39
	v_add_f32_e32 v81, v18, v40
	v_add_f32_e32 v17, v16, v25
	v_sub_f32_e32 v83, v39, v25
	v_sub_f32_e32 v84, v25, v39
	v_add_f32_e32 v18, v19, v26
	v_sub_f32_e32 v85, v40, v26
	v_sub_f32_e32 v86, v26, v40
	v_add_f32_e32 v16, v21, v38
	s_waitcnt lgkmcnt(3)
	v_sub_f32_e32 v21, v2, v43
	s_waitcnt lgkmcnt(1)
	v_sub_f32_e32 v22, v57, v47
	v_add_f32_e32 v25, v43, v47
	v_add_f32_e32 v26, v44, v48
	v_sub_f32_e32 v59, v37, v23
	v_sub_f32_e32 v62, v23, v37
	;; [unrolled: 1-line block ×4, first 2 shown]
	v_add_f32_e32 v15, v20, v37
	ds_read_b64 v[19:20], v29 offset:9480
	v_add_f32_e32 v17, v17, v39
	s_waitcnt lgkmcnt(1)
	v_add_f32_e32 v23, v9, v2
	v_add_f32_e32 v24, v10, v3
	;; [unrolled: 1-line block ×3, first 2 shown]
	v_fma_f32 v21, -0.5, v25, v9
	v_fma_f32 v22, -0.5, v26, v10
	v_sub_f32_e32 v87, v3, v58
	v_sub_f32_e32 v88, v2, v57
	v_add_f32_e32 v37, v23, v43
	v_add_f32_e32 v38, v24, v44
	v_sub_f32_e32 v25, v3, v44
	v_sub_f32_e32 v26, v58, v48
	;; [unrolled: 1-line block ×3, first 2 shown]
	v_fmamk_f32 v23, v87, 0xbf737871, v21
	v_fmamk_f32 v24, v88, 0x3f737871, v22
	v_sub_f32_e32 v90, v43, v47
	v_add_f32_e32 v37, v37, v47
	v_add_f32_e32 v38, v38, v48
	;; [unrolled: 1-line block ×3, first 2 shown]
	v_fmac_f32_e32 v23, 0xbf167918, v89
	v_fmac_f32_e32 v24, 0x3f167918, v90
	v_add_f32_e32 v25, v37, v57
	v_add_f32_e32 v26, v38, v58
	v_add_f32_e32 v37, v0, v41
	v_fmac_f32_e32 v23, 0x3e9e377a, v39
	v_fmac_f32_e32 v24, 0x3e9e377a, v91
	v_add_f32_e32 v18, v18, v40
	s_waitcnt lgkmcnt(0)
	v_add_f32_e32 v38, v1, v42
	s_barrier
	buffer_gl0_inv
	ds_write2_b64 v92, v[25:26], v[23:24] offset1:1
	v_add_f32_e32 v23, v37, v45
	v_sub_f32_e32 v40, v43, v2
	v_add_f32_e32 v2, v2, v57
	v_add_f32_e32 v24, v38, v46
	v_sub_f32_e32 v43, v44, v3
	v_add_f32_e32 v23, v23, v55
	v_add_f32_e32 v3, v3, v58
	v_fma_f32 v9, -0.5, v2, v9
	v_sub_f32_e32 v25, v47, v57
	v_sub_f32_e32 v26, v48, v58
	v_add_f32_e32 v47, v45, v55
	v_sub_f32_e32 v93, v41, v45
	v_sub_f32_e32 v94, v45, v41
	;; [unrolled: 1-line block ×3, first 2 shown]
	v_add_f32_e32 v45, v41, v19
	v_sub_f32_e32 v99, v41, v19
	v_add_f32_e32 v24, v24, v56
	v_sub_f32_e32 v57, v19, v55
	v_sub_f32_e32 v58, v55, v19
	v_fmac_f32_e32 v21, 0x3f737871, v87
	v_add_f32_e32 v37, v23, v19
	v_fmamk_f32 v19, v89, 0x3f737871, v9
	v_fmac_f32_e32 v9, 0xbf737871, v89
	v_fmac_f32_e32 v10, -0.5, v3
	v_fma_f32 v23, -0.5, v11, v4
	v_sub_f32_e32 v98, v42, v20
	v_add_f32_e32 v100, v42, v20
	v_sub_f32_e32 v101, v20, v56
	v_sub_f32_e32 v102, v56, v20
	v_fmac_f32_e32 v21, 0x3f167918, v89
	v_add_f32_e32 v38, v24, v20
	v_add_f32_e32 v2, v40, v25
	v_fmac_f32_e32 v19, 0xbf167918, v87
	v_fmamk_f32 v20, v90, 0xbf737871, v10
	v_fmac_f32_e32 v9, 0x3f167918, v87
	v_fmac_f32_e32 v10, 0x3f737871, v90
	v_fmamk_f32 v25, v27, 0xbf737871, v23
	v_fmac_f32_e32 v23, 0x3f737871, v27
	v_fma_f32 v4, -0.5, v60, v4
	v_fma_f32 v24, -0.5, v63, v5
	v_fmac_f32_e32 v21, 0x3e9e377a, v39
	v_add_f32_e32 v3, v43, v26
	v_fmac_f32_e32 v20, 0x3f167918, v88
	v_fmac_f32_e32 v10, 0xbf167918, v88
	;; [unrolled: 1-line block ×4, first 2 shown]
	v_add_f32_e32 v2, v50, v59
	v_fmac_f32_e32 v25, 0xbf167918, v49
	v_fmac_f32_e32 v23, 0x3f167918, v49
	v_fmamk_f32 v39, v49, 0x3f737871, v4
	v_fmac_f32_e32 v4, 0xbf737871, v49
	v_fmamk_f32 v26, v64, 0x3f737871, v24
	v_fmac_f32_e32 v24, 0xbf737871, v64
	v_fma_f32 v41, -0.5, v70, v6
	v_fma_f32 v6, -0.5, v79, v6
	v_sub_f32_e32 v48, v46, v56
	v_add_f32_e32 v95, v46, v56
	v_sub_f32_e32 v97, v42, v46
	v_sub_f32_e32 v46, v46, v42
	v_fmac_f32_e32 v20, 0x3e9e377a, v3
	v_fmac_f32_e32 v10, 0x3e9e377a, v3
	;; [unrolled: 1-line block ×4, first 2 shown]
	v_add_f32_e32 v2, v61, v62
	v_fmac_f32_e32 v39, 0xbf167918, v27
	v_fmac_f32_e32 v4, 0x3f167918, v27
	v_add_f32_e32 v3, v66, v67
	v_fmac_f32_e32 v26, 0x3f167918, v65
	v_fmac_f32_e32 v24, 0xbf167918, v65
	v_fmamk_f32 v43, v78, 0xbf737871, v41
	v_fmac_f32_e32 v41, 0x3f737871, v78
	v_fmamk_f32 v55, v71, 0x3f737871, v6
	v_fmac_f32_e32 v6, 0xbf737871, v71
	v_fma_f32 v42, -0.5, v74, v7
	v_fmac_f32_e32 v39, 0x3e9e377a, v2
	v_fmac_f32_e32 v4, 0x3e9e377a, v2
	;; [unrolled: 1-line block ×4, first 2 shown]
	v_add_f32_e32 v2, v72, v83
	v_fmac_f32_e32 v43, 0xbf167918, v71
	v_fmac_f32_e32 v41, 0x3f167918, v71
	v_add_f32_e32 v3, v73, v84
	v_fmac_f32_e32 v55, 0xbf167918, v78
	v_fmac_f32_e32 v6, 0x3f167918, v78
	v_fmamk_f32 v44, v80, 0x3f737871, v42
	v_fmac_f32_e32 v42, 0xbf737871, v80
	v_fma_f32 v5, -0.5, v68, v5
	v_fmac_f32_e32 v43, 0x3e9e377a, v2
	v_fmac_f32_e32 v41, 0x3e9e377a, v2
	;; [unrolled: 1-line block ×4, first 2 shown]
	v_add_f32_e32 v3, v76, v85
	v_fmac_f32_e32 v44, 0x3f167918, v75
	v_fmac_f32_e32 v42, 0xbf167918, v75
	v_fma_f32 v2, -0.5, v47, v0
	v_fmamk_f32 v40, v65, 0xbf737871, v5
	v_fmac_f32_e32 v5, 0x3f737871, v65
	v_fmac_f32_e32 v7, -0.5, v81
	v_fmac_f32_e32 v44, 0x3e9e377a, v3
	v_fmac_f32_e32 v42, 0x3e9e377a, v3
	v_fmamk_f32 v49, v98, 0xbf737871, v2
	v_fmac_f32_e32 v2, 0x3f737871, v98
	v_fma_f32 v3, -0.5, v95, v1
	v_add_f32_e32 v11, v69, v82
	v_fmac_f32_e32 v40, 0x3f167918, v64
	v_fmac_f32_e32 v5, 0xbf167918, v64
	v_fmamk_f32 v56, v75, 0xbf737871, v7
	v_fmac_f32_e32 v7, 0x3f737871, v75
	v_fma_f32 v45, -0.5, v45, v0
	v_fmac_f32_e32 v1, -0.5, v100
	v_add_f32_e32 v0, v93, v57
	v_fmac_f32_e32 v49, 0xbf167918, v48
	v_fmac_f32_e32 v2, 0x3f167918, v48
	v_fmamk_f32 v50, v99, 0x3f737871, v3
	v_fmac_f32_e32 v3, 0xbf737871, v99
	v_fmac_f32_e32 v22, 0xbf737871, v88
	;; [unrolled: 1-line block ×4, first 2 shown]
	v_add_f32_e32 v11, v77, v86
	v_fmac_f32_e32 v56, 0x3f167918, v80
	v_fmac_f32_e32 v7, 0xbf167918, v80
	v_fmamk_f32 v47, v48, 0x3f737871, v45
	v_fmac_f32_e32 v45, 0xbf737871, v48
	v_fmamk_f32 v48, v96, 0xbf737871, v1
	v_fmac_f32_e32 v1, 0x3f737871, v96
	v_fmac_f32_e32 v49, 0x3e9e377a, v0
	;; [unrolled: 1-line block ×3, first 2 shown]
	v_add_f32_e32 v0, v97, v101
	v_fmac_f32_e32 v50, 0x3f167918, v96
	v_fmac_f32_e32 v3, 0xbf167918, v96
	;; [unrolled: 1-line block ×5, first 2 shown]
	v_add_f32_e32 v11, v94, v58
	v_fmac_f32_e32 v47, 0xbf167918, v98
	v_fmac_f32_e32 v45, 0x3f167918, v98
	v_add_f32_e32 v27, v46, v102
	v_fmac_f32_e32 v48, 0x3f167918, v99
	v_fmac_f32_e32 v1, 0xbf167918, v99
	;; [unrolled: 1-line block ×4, first 2 shown]
	v_mad_i32_i24 v0, v36, 40, 0
	v_fmac_f32_e32 v22, 0x3e9e377a, v91
	v_fmac_f32_e32 v47, 0x3e9e377a, v11
	;; [unrolled: 1-line block ×4, first 2 shown]
	v_mad_i32_i24 v11, v30, 40, v52
	v_fmac_f32_e32 v1, 0x3e9e377a, v27
	ds_write2_b64 v92, v[19:20], v[9:10] offset0:2 offset1:3
	ds_write_b64 v92, v[21:22] offset:32
	v_add_nc_u32_e32 v9, v0, v54
	ds_write2_b64 v11, v[15:16], v[25:26] offset1:1
	ds_write2_b64 v11, v[39:40], v[4:5] offset0:2 offset1:3
	ds_write_b64 v11, v[23:24] offset:32
	ds_write2_b64 v9, v[17:18], v[43:44] offset1:1
	ds_write2_b64 v9, v[55:56], v[6:7] offset0:2 offset1:3
	ds_write_b64 v9, v[41:42] offset:32
	s_and_saveexec_b32 s1, s0
	s_cbranch_execz .LBB0_14
; %bb.13:
	v_mul_i32_i24_e32 v4, 40, v34
	v_mov_b32_e32 v46, v1
	v_add3_u32 v4, 0, v4, v54
	ds_write2_b64 v4, v[37:38], v[49:50] offset1:1
	ds_write2_b64 v4, v[47:48], v[45:46] offset0:2 offset1:3
	ds_write_b64 v4, v[2:3] offset:32
.LBB0_14:
	s_or_b32 exec_lo, exec_lo, s1
	v_lshlrev_b32_e32 v5, 5, v36
	v_lshlrev_b32_e32 v15, 3, v30
	v_add_nc_u32_e32 v4, 0x400, v29
	v_add_nc_u32_e32 v6, 0x1400, v29
	s_waitcnt lgkmcnt(0)
	v_sub_nc_u32_e32 v0, v0, v5
	v_add3_u32 v56, 0, v15, v54
	s_barrier
	buffer_gl0_inv
	ds_read2_b64 v[24:27], v4 offset0:112 offset1:187
	v_add_nc_u32_e32 v55, v0, v54
	ds_read2_b64 v[8:11], v8 offset0:134 offset1:224
	ds_read2_b64 v[20:23], v6 offset0:80 offset1:155
	;; [unrolled: 1-line block ×5, first 2 shown]
	ds_read_b64 v[43:44], v51
	ds_read_b64 v[41:42], v56
	;; [unrolled: 1-line block ×3, first 2 shown]
	v_lshlrev_b32_e32 v46, 3, v34
	s_and_saveexec_b32 s1, s0
	s_cbranch_execz .LBB0_16
; %bb.15:
	v_add_nc_u32_e32 v0, 0x1d80, v29
	v_add_nc_u32_e32 v37, 0xe80, v29
	ds_read2_b64 v[0:3], v0 offset0:1 offset1:241
	ds_read2_b64 v[57:60], v37 offset0:1 offset1:241
	v_add3_u32 v37, 0, v46, v54
	ds_read_b64 v[37:38], v37
	s_waitcnt lgkmcnt(2)
	v_mov_b32_e32 v45, v0
	s_waitcnt lgkmcnt(1)
	v_mov_b32_e32 v48, v60
	v_mov_b32_e32 v47, v59
	;; [unrolled: 1-line block ×4, first 2 shown]
.LBB0_16:
	s_or_b32 exec_lo, exec_lo, s1
	v_and_b32_e32 v58, 0xff, v30
	v_and_b32_e32 v0, 0xff, v28
	;; [unrolled: 1-line block ×3, first 2 shown]
	v_mov_b32_e32 v83, 5
	v_mul_lo_u16 v58, 0xcd, v58
	v_mul_lo_u16 v57, 0xcd, v0
	v_lshrrev_b16 v91, 10, v58
	v_mul_lo_u16 v58, 0xcd, v60
	v_lshrrev_b16 v57, 10, v57
	v_lshrrev_b16 v93, 10, v58
	v_mov_b32_e32 v58, 0xcccd
	v_mul_lo_u16 v59, v57, 5
	v_and_b32_e32 v96, 0xffff, v57
	v_mov_b32_e32 v57, 3
	v_mul_lo_u16 v67, v93, 5
	v_mul_u32_u24_sdwa v58, v34, v58 dst_sel:DWORD dst_unused:UNUSED_PAD src0_sel:WORD_0 src1_sel:DWORD
	v_sub_nc_u16 v92, v28, v59
	v_mul_lo_u16 v59, v91, 5
	v_and_b32_e32 v91, 0xffff, v91
	v_sub_nc_u16 v95, v36, v67
	v_lshrrev_b32_e32 v58, 18, v58
	v_lshlrev_b32_sdwa v63, v83, v92 dst_sel:DWORD dst_unused:UNUSED_PAD src0_sel:DWORD src1_sel:BYTE_0
	v_sub_nc_u16 v94, v30, v59
	v_and_b32_e32 v93, 0xffff, v93
	v_lshlrev_b32_sdwa v79, v83, v95 dst_sel:DWORD dst_unused:UNUSED_PAD src0_sel:DWORD src1_sel:BYTE_0
	v_mul_lo_u16 v58, v58, 5
	global_load_dwordx4 v[59:62], v63, s[8:9]
	v_lshlrev_b32_sdwa v71, v83, v94 dst_sel:DWORD dst_unused:UNUSED_PAD src0_sel:DWORD src1_sel:BYTE_0
	v_mad_u32_u24 v96, 0xc8, v96, 0
	v_mad_u32_u24 v91, 0xc8, v91, 0
	v_sub_nc_u16 v58, v34, v58
	v_mad_u32_u24 v93, 0xc8, v93, 0
	s_clause 0x3
	global_load_dwordx4 v[67:70], v71, s[8:9]
	global_load_dwordx4 v[63:66], v63, s[8:9] offset:16
	global_load_dwordx4 v[71:74], v71, s[8:9] offset:16
	global_load_dwordx4 v[75:78], v79, s[8:9]
	v_lshlrev_b32_sdwa v87, v83, v58 dst_sel:DWORD dst_unused:UNUSED_PAD src0_sel:DWORD src1_sel:WORD_0
	global_load_dwordx4 v[79:82], v79, s[8:9] offset:16
	v_lshlrev_b32_sdwa v92, v57, v92 dst_sel:DWORD dst_unused:UNUSED_PAD src0_sel:DWORD src1_sel:BYTE_0
	s_clause 0x1
	global_load_dwordx4 v[83:86], v87, s[8:9]
	global_load_dwordx4 v[87:90], v87, s[8:9] offset:16
	v_lshlrev_b32_sdwa v94, v57, v94 dst_sel:DWORD dst_unused:UNUSED_PAD src0_sel:DWORD src1_sel:BYTE_0
	v_lshlrev_b32_sdwa v95, v57, v95 dst_sel:DWORD dst_unused:UNUSED_PAD src0_sel:DWORD src1_sel:BYTE_0
	v_add3_u32 v92, v96, v92, v54
	s_waitcnt vmcnt(0) lgkmcnt(0)
	s_barrier
	v_add3_u32 v91, v91, v94, v54
	v_add3_u32 v93, v93, v95, v54
	buffer_gl0_inv
	v_mul_f32_e32 v94, v60, v25
	v_mul_f32_e32 v60, v60, v24
	;; [unrolled: 1-line block ×4, first 2 shown]
	v_fmac_f32_e32 v94, v59, v24
	v_mul_f32_e32 v98, v68, v27
	v_mul_f32_e32 v96, v64, v21
	;; [unrolled: 1-line block ×15, first 2 shown]
	v_fma_f32 v24, v59, v25, -v60
	v_fmac_f32_e32 v95, v61, v10
	v_fma_f32 v59, v61, v11, -v62
	v_mul_f32_e32 v25, v18, v78
	v_mul_f32_e32 v78, v5, v80
	v_mul_f32_e32 v60, v4, v80
	v_mul_f32_e32 v80, v15, v82
	v_fmac_f32_e32 v96, v63, v20
	v_fma_f32 v20, v63, v21, -v64
	v_fmac_f32_e32 v97, v65, v6
	v_fma_f32 v104, v65, v7, -v66
	v_mul_f32_e32 v21, v14, v82
	v_mul_f32_e32 v11, v50, v84
	;; [unrolled: 1-line block ×4, first 2 shown]
	v_fmac_f32_e32 v98, v67, v26
	v_fma_f32 v26, v67, v27, -v68
	v_mul_f32_e32 v27, v47, v86
	v_mul_f32_e32 v10, v1, v88
	v_mul_f32_e32 v62, v45, v88
	v_mul_f32_e32 v6, v3, v90
	v_fmac_f32_e32 v99, v69, v16
	v_fma_f32 v16, v69, v17, -v70
	v_mul_f32_e32 v17, v2, v90
	v_fmac_f32_e32 v100, v71, v22
	v_fma_f32 v22, v71, v23, -v72
	v_fmac_f32_e32 v101, v12, v73
	v_fma_f32 v74, v13, v73, -v74
	;; [unrolled: 2-line block ×10, first 2 shown]
	v_add_f32_e32 v13, v95, v96
	v_sub_f32_e32 v14, v94, v95
	v_sub_f32_e32 v15, v97, v96
	v_add_f32_e32 v17, v94, v97
	v_sub_f32_e32 v18, v95, v94
	v_sub_f32_e32 v19, v96, v97
	v_add_f32_e32 v61, v41, v98
	v_add_f32_e32 v3, v43, v94
	v_sub_f32_e32 v27, v24, v104
	v_add_f32_e32 v21, v44, v24
	v_add_f32_e32 v47, v59, v20
	v_sub_f32_e32 v48, v24, v59
	v_add_f32_e32 v50, v24, v104
	v_sub_f32_e32 v24, v59, v24
	v_sub_f32_e32 v60, v20, v104
	v_add_f32_e32 v62, v99, v100
	v_sub_f32_e32 v63, v98, v99
	v_sub_f32_e32 v64, v101, v100
	;; [unrolled: 1-line block ×3, first 2 shown]
	v_add_f32_e32 v68, v42, v26
	v_sub_f32_e32 v82, v99, v100
	v_add_f32_e32 v106, v40, v9
	v_add_f32_e32 v114, v7, v10
	;; [unrolled: 1-line block ×4, first 2 shown]
	v_fma_f32 v25, -0.5, v13, v43
	v_fma_f32 v43, -0.5, v17, v43
	v_sub_f32_e32 v15, v7, v11
	v_add_f32_e32 v119, v18, v19
	v_sub_f32_e32 v17, v10, v6
	v_add_f32_e32 v18, v5, v4
	v_add_f32_e32 v99, v61, v99
	;; [unrolled: 1-line block ×3, first 2 shown]
	v_sub_f32_e32 v49, v104, v20
	v_add_f32_e32 v69, v16, v22
	v_add_f32_e32 v65, v98, v101
	;; [unrolled: 1-line block ×3, first 2 shown]
	v_sub_f32_e32 v45, v59, v20
	v_sub_f32_e32 v73, v94, v97
	;; [unrolled: 1-line block ×8, first 2 shown]
	v_add_f32_e32 v85, v39, v102
	v_add_f32_e32 v86, v103, v78
	v_sub_f32_e32 v87, v9, v76
	v_sub_f32_e32 v88, v12, v23
	v_add_f32_e32 v94, v102, v80
	v_add_f32_e32 v107, v12, v23
	v_sub_f32_e32 v109, v9, v12
	v_add_f32_e32 v111, v9, v76
	v_sub_f32_e32 v112, v12, v9
	v_sub_f32_e32 v2, v8, v1
	;; [unrolled: 1-line block ×3, first 2 shown]
	v_add_f32_e32 v95, v3, v95
	v_add_f32_e32 v21, v21, v59
	v_fma_f32 v26, -0.5, v47, v44
	v_sub_f32_e32 v3, v11, v6
	v_sub_f32_e32 v14, v7, v10
	;; [unrolled: 1-line block ×3, first 2 shown]
	v_add_f32_e32 v121, v24, v60
	v_sub_f32_e32 v60, v1, v4
	v_add_f32_e32 v122, v63, v64
	v_add_f32_e32 v64, v68, v16
	;; [unrolled: 1-line block ×3, first 2 shown]
	v_fma_f32 v12, -0.5, v114, v37
	v_fma_f32 v13, -0.5, v117, v37
	v_add_f32_e32 v19, v15, v17
	v_fma_f32 v15, -0.5, v18, v38
	v_fma_f32 v17, -0.5, v61, v38
	v_fmac_f32_e32 v44, -0.5, v50
	v_fma_f32 v47, -0.5, v62, v41
	v_sub_f32_e32 v62, v5, v8
	v_sub_f32_e32 v63, v4, v1
	;; [unrolled: 1-line block ×3, first 2 shown]
	v_add_f32_e32 v120, v48, v49
	v_fma_f32 v48, -0.5, v69, v42
	v_sub_f32_e32 v79, v16, v22
	v_fma_f32 v41, -0.5, v65, v41
	v_fmac_f32_e32 v42, -0.5, v72
	v_sub_f32_e32 v84, v22, v74
	v_sub_f32_e32 v89, v102, v103
	;; [unrolled: 1-line block ×9, first 2 shown]
	v_add_f32_e32 v123, v66, v67
	v_add_f32_e32 v124, v70, v71
	v_add_f32_e32 v67, v85, v103
	v_fma_f32 v49, -0.5, v86, v39
	v_fma_f32 v39, -0.5, v94, v39
	v_fma_f32 v50, -0.5, v107, v40
	v_fmac_f32_e32 v40, -0.5, v111
	v_add_f32_e32 v18, v59, v60
	v_add_f32_e32 v71, v95, v96
	v_fmamk_f32 v59, v27, 0xbf737871, v25
	v_add_f32_e32 v72, v21, v20
	v_fmamk_f32 v60, v73, 0x3f737871, v26
	v_add_f32_e32 v94, v64, v22
	v_add_f32_e32 v95, v68, v23
	v_fmamk_f32 v20, v2, 0xbf737871, v12
	v_fmamk_f32 v22, v9, 0x3f737871, v13
	;; [unrolled: 1-line block ×4, first 2 shown]
	v_add_f32_e32 v16, v62, v63
	v_fmamk_f32 v61, v45, 0x3f737871, v43
	v_fmac_f32_e32 v43, 0xbf737871, v45
	v_fmamk_f32 v62, v75, 0xbf737871, v44
	v_fmac_f32_e32 v44, 0x3f737871, v75
	v_fmac_f32_e32 v25, 0x3f737871, v27
	;; [unrolled: 1-line block ×3, first 2 shown]
	v_sub_f32_e32 v90, v80, v78
	v_fmamk_f32 v63, v77, 0xbf737871, v47
	v_fmamk_f32 v64, v81, 0x3f737871, v48
	;; [unrolled: 1-line block ×3, first 2 shown]
	v_fmac_f32_e32 v41, 0xbf737871, v79
	v_fmamk_f32 v66, v82, 0xbf737871, v42
	v_fmac_f32_e32 v42, 0x3f737871, v82
	v_sub_f32_e32 v105, v78, v80
	v_add_f32_e32 v24, v115, v116
	v_fmac_f32_e32 v47, 0x3f737871, v77
	v_fmac_f32_e32 v48, 0xbf737871, v81
	v_add_f32_e32 v78, v67, v78
	v_fmamk_f32 v67, v87, 0xbf737871, v49
	v_fmac_f32_e32 v49, 0x3f737871, v87
	v_fmamk_f32 v69, v88, 0x3f737871, v39
	v_fmac_f32_e32 v39, 0xbf737871, v88
	;; [unrolled: 2-line block ×4, first 2 shown]
	v_fmac_f32_e32 v59, 0xbf167918, v45
	v_fmac_f32_e32 v60, 0x3f167918, v75
	;; [unrolled: 1-line block ×12, first 2 shown]
	v_add_f32_e32 v83, v83, v84
	v_add_f32_e32 v84, v89, v90
	;; [unrolled: 1-line block ×3, first 2 shown]
	v_fmac_f32_e32 v63, 0xbf167918, v79
	v_fmac_f32_e32 v64, 0x3f167918, v82
	;; [unrolled: 1-line block ×6, first 2 shown]
	v_add_f32_e32 v85, v98, v105
	v_add_f32_e32 v86, v109, v110
	;; [unrolled: 1-line block ×5, first 2 shown]
	v_fmac_f32_e32 v47, 0x3f167918, v79
	v_fmac_f32_e32 v48, 0xbf167918, v82
	;; [unrolled: 1-line block ×22, first 2 shown]
	v_add_f32_e32 v73, v90, v101
	v_add_f32_e32 v74, v94, v74
	v_fmac_f32_e32 v63, 0x3e9e377a, v122
	v_fmac_f32_e32 v64, 0x3e9e377a, v124
	v_fmac_f32_e32 v65, 0x3e9e377a, v123
	v_fmac_f32_e32 v41, 0x3e9e377a, v123
	v_fmac_f32_e32 v66, 0x3e9e377a, v83
	v_fmac_f32_e32 v42, 0x3e9e377a, v83
	v_add_f32_e32 v75, v78, v80
	v_add_f32_e32 v76, v95, v76
	v_fmac_f32_e32 v47, 0x3e9e377a, v122
	v_fmac_f32_e32 v48, 0x3e9e377a, v124
	;; [unrolled: 1-line block ×10, first 2 shown]
	ds_write2_b64 v92, v[71:72], v[59:60] offset1:5
	ds_write2_b64 v92, v[61:62], v[43:44] offset0:10 offset1:15
	ds_write_b64 v92, v[25:26] offset:160
	ds_write2_b64 v91, v[73:74], v[63:64] offset1:5
	ds_write2_b64 v91, v[65:66], v[41:42] offset0:10 offset1:15
	ds_write_b64 v91, v[47:48] offset:160
	;; [unrolled: 3-line block ×3, first 2 shown]
	s_and_saveexec_b32 s1, s0
	s_cbranch_execz .LBB0_18
; %bb.17:
	v_mul_f32_e32 v25, 0x3f737871, v2
	v_mul_f32_e32 v27, 0x3f167918, v2
	v_mul_f32_e32 v2, 0x3f737871, v3
	v_mul_f32_e32 v39, 0x3f737871, v14
	v_and_b32_e32 v40, 0xff, v34
	v_mul_f32_e32 v3, 0x3f167918, v3
	v_add_f32_e32 v8, v38, v8
	v_sub_f32_e32 v2, v15, v2
	v_add_f32_e32 v17, v39, v17
	v_mul_f32_e32 v15, 0x3e9e377a, v16
	v_mul_lo_u16 v16, 0xcd, v40
	v_mul_f32_e32 v14, 0x3f167918, v14
	v_add_f32_e32 v11, v37, v11
	v_sub_f32_e32 v3, v17, v3
	v_mul_f32_e32 v26, 0x3f167918, v9
	v_lshrrev_b16 v16, 10, v16
	v_mul_f32_e32 v9, 0x3f737871, v9
	v_add_f32_e32 v8, v8, v5
	v_sub_f32_e32 v14, v2, v14
	v_add_f32_e32 v2, v15, v3
	v_add_f32_e32 v3, v11, v7
	v_and_b32_e32 v7, 0xffff, v16
	v_add_f32_e32 v4, v8, v4
	v_sub_f32_e32 v8, v13, v9
	v_add_f32_e32 v9, v12, v25
	v_add_f32_e32 v3, v3, v10
	v_mad_u32_u24 v10, 0xc8, v7, 0
	v_lshlrev_b32_sdwa v11, v57, v58 dst_sel:DWORD dst_unused:UNUSED_PAD src0_sel:DWORD src1_sel:WORD_0
	v_mul_f32_e32 v19, 0x3e9e377a, v19
	v_add_f32_e32 v8, v27, v8
	v_mul_f32_e32 v24, 0x3e9e377a, v24
	v_mul_f32_e32 v18, 0x3e9e377a, v18
	v_add_f32_e32 v9, v26, v9
	v_add_f32_e32 v7, v4, v1
	;; [unrolled: 1-line block ×3, first 2 shown]
	v_add3_u32 v3, v10, v11, v54
	v_add_f32_e32 v1, v19, v8
	v_add_f32_e32 v5, v18, v14
	;; [unrolled: 1-line block ×3, first 2 shown]
	ds_write2_b64 v3, v[6:7], v[20:21] offset1:5
	ds_write2_b64 v3, v[22:23], v[1:2] offset0:10 offset1:15
	ds_write_b64 v3, v[4:5] offset:160
.LBB0_18:
	s_or_b32 exec_lo, exec_lo, s1
	v_mul_lo_u16 v0, v0, 41
	v_mov_b32_e32 v1, 15
	s_waitcnt lgkmcnt(0)
	s_barrier
	buffer_gl0_inv
	v_lshrrev_b16 v24, 10, v0
	v_add3_u32 v25, 0, v46, v54
	v_add_nc_u32_e32 v86, 0x800, v29
	v_add_nc_u32_e32 v5, 0xc00, v29
	v_add_nc_u32_e32 v78, 0x2000, v29
	v_mul_lo_u16 v0, v24, 25
	v_add_nc_u32_e32 v70, 0x1400, v29
	v_add_nc_u32_e32 v87, 0x1800, v29
	v_and_b32_e32 v24, 0xffff, v24
	v_add_nc_u32_e32 v88, 0x1c00, v29
	v_sub_nc_u16 v62, v28, v0
	v_cmp_gt_u32_e64 s0, 25, v28
	v_mad_u32_u24 v24, 0xc80, v24, 0
	v_mul_u32_u24_sdwa v0, v62, v1 dst_sel:DWORD dst_unused:UNUSED_PAD src0_sel:BYTE_0 src1_sel:DWORD
	v_lshlrev_b32_sdwa v57, v57, v62 dst_sel:DWORD dst_unused:UNUSED_PAD src0_sel:DWORD src1_sel:BYTE_0
	v_lshlrev_b32_e32 v4, 3, v0
	v_add3_u32 v24, v24, v57, v54
	s_clause 0x7
	global_load_dwordx4 v[0:3], v4, s[8:9] offset:160
	global_load_dwordx4 v[6:9], v4, s[8:9] offset:176
	;; [unrolled: 1-line block ×7, first 2 shown]
	global_load_dwordx2 v[18:19], v4, s[8:9] offset:272
	v_add_nc_u32_e32 v4, 0x1000, v29
	ds_read_b64 v[26:27], v51
	ds_read_b64 v[45:46], v56
	;; [unrolled: 1-line block ×4, first 2 shown]
	ds_read2_b64 v[58:61], v86 offset0:44 offset1:119
	ds_read2_b64 v[62:65], v5 offset0:66 offset1:141
	;; [unrolled: 1-line block ×6, first 2 shown]
	v_add_nc_u32_e32 v57, 0x800, v24
	v_add_nc_u32_e32 v54, 0x400, v24
	s_waitcnt vmcnt(0) lgkmcnt(0)
	s_barrier
	buffer_gl0_inv
	v_mul_f32_e32 v89, v1, v46
	v_mul_f32_e32 v1, v1, v45
	v_mul_f32_e32 v90, v3, v83
	v_mul_f32_e32 v3, v3, v82
	v_mul_f32_e32 v91, v7, v85
	v_mul_f32_e32 v7, v7, v84
	v_mul_f32_e32 v92, v59, v9
	v_mul_f32_e32 v9, v58, v9
	v_mul_f32_e32 v93, v61, v11
	v_mul_f32_e32 v11, v60, v11
	v_mul_f32_e32 v94, v63, v13
	v_mul_f32_e32 v13, v62, v13
	v_mul_f32_e32 v95, v65, v15
	v_mul_f32_e32 v15, v64, v15
	v_mul_f32_e32 v96, v67, v17
	v_mul_f32_e32 v17, v66, v17
	v_mul_f32_e32 v97, v69, v38
	v_mul_f32_e32 v38, v68, v38
	v_mul_f32_e32 v98, v71, v40
	v_mul_f32_e32 v40, v70, v40
	v_mul_f32_e32 v99, v73, v42
	v_mul_f32_e32 v42, v72, v42
	v_mul_f32_e32 v100, v75, v44
	v_mul_f32_e32 v44, v74, v44
	v_mul_f32_e32 v101, v77, v48
	v_mul_f32_e32 v48, v76, v48
	v_mul_f32_e32 v102, v79, v50
	v_mul_f32_e32 v50, v78, v50
	v_mul_f32_e32 v103, v81, v19
	v_mul_f32_e32 v19, v80, v19
	v_fmac_f32_e32 v89, v0, v45
	v_fma_f32 v0, v0, v46, -v1
	v_fmac_f32_e32 v90, v2, v82
	v_fma_f32 v1, v2, v83, -v3
	;; [unrolled: 2-line block ×15, first 2 shown]
	v_sub_f32_e32 v17, v26, v96
	v_sub_f32_e32 v9, v27, v9
	;; [unrolled: 1-line block ×16, first 2 shown]
	v_fma_f32 v42, v92, 2.0, -v18
	v_fma_f32 v3, v3, 2.0, -v13
	;; [unrolled: 1-line block ×11, first 2 shown]
	v_add_f32_e32 v13, v17, v13
	v_sub_f32_e32 v18, v9, v18
	v_add_f32_e32 v15, v19, v15
	v_sub_f32_e32 v37, v11, v37
	;; [unrolled: 2-line block ×4, first 2 shown]
	v_fma_f32 v26, v26, 2.0, -v17
	v_fma_f32 v27, v27, 2.0, -v9
	;; [unrolled: 1-line block ×9, first 2 shown]
	v_sub_f32_e32 v46, v45, v46
	v_sub_f32_e32 v6, v0, v6
	v_fma_f32 v49, v38, 2.0, -v14
	v_fma_f32 v10, v10, 2.0, -v39
	v_sub_f32_e32 v38, v47, v48
	v_fma_f32 v40, v40, 2.0, -v16
	v_fma_f32 v12, v12, 2.0, -v41
	v_sub_f32_e32 v42, v26, v42
	v_sub_f32_e32 v3, v27, v3
	;; [unrolled: 1-line block ×5, first 2 shown]
	v_fmamk_f32 v48, v15, 0x3f3504f3, v13
	v_fmamk_f32 v50, v37, 0x3f3504f3, v18
	;; [unrolled: 1-line block ×4, first 2 shown]
	v_fma_f32 v45, v45, 2.0, -v46
	v_fma_f32 v60, v0, 2.0, -v6
	;; [unrolled: 1-line block ×3, first 2 shown]
	v_fmamk_f32 v47, v19, 0xbf3504f3, v17
	v_fmamk_f32 v61, v11, 0xbf3504f3, v9
	;; [unrolled: 1-line block ×4, first 2 shown]
	v_fma_f32 v26, v26, 2.0, -v42
	v_fma_f32 v43, v43, 2.0, -v44
	v_add_f32_e32 v62, v42, v7
	v_sub_f32_e32 v44, v3, v44
	v_fmac_f32_e32 v48, 0x3f3504f3, v37
	v_fmac_f32_e32 v50, 0xbf3504f3, v15
	v_add_f32_e32 v15, v46, v8
	v_sub_f32_e32 v65, v6, v38
	v_fmac_f32_e32 v58, 0x3f3504f3, v41
	v_fmac_f32_e32 v59, 0xbf3504f3, v16
	v_fma_f32 v27, v27, 2.0, -v3
	v_fma_f32 v1, v1, 2.0, -v7
	;; [unrolled: 1-line block ×3, first 2 shown]
	v_fmac_f32_e32 v47, 0x3f3504f3, v11
	v_fmac_f32_e32 v61, 0xbf3504f3, v19
	v_sub_f32_e32 v11, v45, v0
	v_fmac_f32_e32 v63, 0x3f3504f3, v12
	v_fmac_f32_e32 v64, 0xbf3504f3, v40
	v_sub_f32_e32 v16, v26, v43
	v_fma_f32 v42, v42, 2.0, -v62
	v_fma_f32 v43, v3, 2.0, -v44
	v_fma_f32 v66, v13, 2.0, -v48
	v_fma_f32 v67, v18, 2.0, -v50
	v_fma_f32 v18, v46, 2.0, -v15
	v_fma_f32 v19, v6, 2.0, -v65
	v_fma_f32 v40, v14, 2.0, -v58
	v_fma_f32 v39, v39, 2.0, -v59
	v_sub_f32_e32 v41, v27, v1
	v_sub_f32_e32 v8, v60, v2
	v_fmamk_f32 v0, v15, 0x3f3504f3, v62
	v_fmamk_f32 v1, v65, 0x3f3504f3, v44
	;; [unrolled: 1-line block ×4, first 2 shown]
	v_fma_f32 v69, v17, 2.0, -v47
	v_fma_f32 v70, v9, 2.0, -v61
	;; [unrolled: 1-line block ×5, first 2 shown]
	v_fmamk_f32 v2, v18, 0xbf3504f3, v42
	v_fmamk_f32 v3, v19, 0xbf3504f3, v43
	;; [unrolled: 1-line block ×4, first 2 shown]
	v_sub_f32_e32 v9, v41, v11
	v_fmamk_f32 v10, v63, 0x3ec3ef15, v47
	v_fmamk_f32 v11, v64, 0x3ec3ef15, v61
	v_fma_f32 v46, v26, 2.0, -v16
	v_fma_f32 v68, v27, 2.0, -v41
	;; [unrolled: 1-line block ×3, first 2 shown]
	v_fmac_f32_e32 v0, 0x3f3504f3, v65
	v_fmac_f32_e32 v1, 0xbf3504f3, v15
	;; [unrolled: 1-line block ×4, first 2 shown]
	v_fmamk_f32 v14, v45, 0xbf6c835e, v69
	v_fmamk_f32 v15, v49, 0xbf6c835e, v70
	v_fmac_f32_e32 v2, 0x3f3504f3, v19
	v_fmac_f32_e32 v3, 0xbf3504f3, v18
	;; [unrolled: 1-line block ×4, first 2 shown]
	v_add_f32_e32 v8, v16, v8
	v_fmac_f32_e32 v10, 0x3f6c835e, v64
	v_fmac_f32_e32 v11, 0xbf6c835e, v63
	v_sub_f32_e32 v12, v46, v12
	v_sub_f32_e32 v13, v68, v13
	v_fma_f32 v18, v62, 2.0, -v0
	v_fma_f32 v19, v44, 2.0, -v1
	;; [unrolled: 1-line block ×4, first 2 shown]
	v_fmac_f32_e32 v14, 0x3ec3ef15, v49
	v_fmac_f32_e32 v15, 0xbec3ef15, v45
	v_fma_f32 v17, v41, 2.0, -v9
	v_fma_f32 v39, v42, 2.0, -v2
	;; [unrolled: 1-line block ×8, first 2 shown]
	ds_write2_b64 v57, v[0:1], v[37:38] offset0:94 offset1:119
	v_fma_f32 v0, v46, 2.0, -v12
	v_fma_f32 v1, v68, 2.0, -v13
	ds_write2_b64 v24, v[18:19], v[26:27] offset0:150 offset1:175
	ds_write2_b64 v54, v[2:3], v[6:7] offset0:122 offset1:147
	v_fma_f32 v2, v69, 2.0, -v14
	v_fma_f32 v3, v70, 2.0, -v15
	ds_write2_b64 v57, v[8:9], v[10:11] offset0:44 offset1:69
	ds_write2_b64 v24, v[39:40], v[41:42] offset0:50 offset1:75
	;; [unrolled: 1-line block ×4, first 2 shown]
	ds_write2_b64 v24, v[0:1], v[2:3] offset1:25
	s_waitcnt lgkmcnt(0)
	s_barrier
	buffer_gl0_inv
	ds_read_b64 v[47:48], v51
	ds_read2_b64 v[0:3], v86 offset0:44 offset1:144
	ds_read2_b64 v[16:19], v87 offset0:32 offset1:107
	;; [unrolled: 1-line block ×3, first 2 shown]
	ds_read_b64 v[41:42], v55
	ds_read2_b64 v[8:11], v88 offset0:54 offset1:129
	ds_read_b64 v[39:40], v25
	ds_read2_b64 v[4:7], v4 offset0:113 offset1:188
	ds_read_b64 v[45:46], v56
	ds_read_b64 v[49:50], v29 offset:8800
	s_and_saveexec_b32 s1, s0
	s_cbranch_execz .LBB0_20
; %bb.19:
	ds_read_b64 v[37:38], v29 offset:3000
	ds_read_b64 v[20:21], v29 offset:6200
	;; [unrolled: 1-line block ×3, first 2 shown]
.LBB0_20:
	s_or_b32 exec_lo, exec_lo, s1
	v_lshlrev_b32_e32 v43, 1, v28
	v_mov_b32_e32 v44, 0
	v_lshlrev_b64 v[26:27], 3, v[43:44]
	v_lshlrev_b32_e32 v43, 1, v30
	v_lshlrev_b64 v[57:58], 3, v[43:44]
	v_add_co_u32 v24, s1, s8, v26
	v_add_co_ci_u32_e64 v54, s1, s9, v27, s1
	v_lshlrev_b32_e32 v43, 1, v36
	v_add_co_u32 v59, s1, 0x800, v24
	v_add_co_ci_u32_e64 v60, s1, 0, v54, s1
	v_add_co_u32 v24, s1, s8, v57
	v_lshlrev_b64 v[26:27], 3, v[43:44]
	v_add_co_ci_u32_e64 v54, s1, s9, v58, s1
	v_add_co_u32 v61, s1, 0x800, v24
	v_lshlrev_b32_e32 v43, 1, v34
	v_add_co_ci_u32_e64 v62, s1, 0, v54, s1
	v_add_co_u32 v24, s1, s8, v26
	v_add_co_ci_u32_e64 v27, s1, s9, v27, s1
	v_lshlrev_b64 v[69:70], 3, v[43:44]
	v_add_co_u32 v26, s1, 0x800, v24
	v_add_co_ci_u32_e64 v27, s1, 0, v27, s1
	v_add_nc_u32_e32 v24, 0x12c, v28
	s_clause 0x2
	global_load_dwordx4 v[57:60], v[59:60], off offset:1112
	global_load_dwordx4 v[61:64], v[61:62], off offset:1112
	;; [unrolled: 1-line block ×3, first 2 shown]
	v_add_co_u32 v26, s1, s8, v69
	v_lshlrev_b32_e32 v43, 1, v24
	v_add_co_ci_u32_e64 v27, s1, s9, v70, s1
	v_add_co_u32 v26, s1, 0x800, v26
	v_lshlrev_b64 v[73:74], 3, v[43:44]
	v_add_co_ci_u32_e64 v27, s1, 0, v27, s1
	global_load_dwordx4 v[69:72], v[26:27], off offset:1112
	v_add_co_u32 v26, s1, s8, v73
	v_add_co_ci_u32_e64 v27, s1, s9, v74, s1
	v_add_co_u32 v26, s1, 0x800, v26
	v_add_co_ci_u32_e64 v27, s1, 0, v27, s1
	global_load_dwordx4 v[73:76], v[26:27], off offset:1112
	v_lshl_add_u32 v27, v35, 3, v53
	s_waitcnt vmcnt(0) lgkmcnt(0)
	s_barrier
	buffer_gl0_inv
	v_add_nc_u32_e32 v26, 0x177, v28
	v_mul_f32_e32 v35, v58, v3
	v_mul_f32_e32 v43, v58, v2
	;; [unrolled: 1-line block ×4, first 2 shown]
	v_fmac_f32_e32 v35, v57, v2
	v_fma_f32 v2, v57, v3, -v43
	v_fmac_f32_e32 v53, v59, v16
	v_mul_f32_e32 v16, v62, v13
	v_mul_f32_e32 v3, v62, v12
	;; [unrolled: 1-line block ×4, first 2 shown]
	v_fma_f32 v17, v59, v17, -v54
	v_fmac_f32_e32 v16, v61, v12
	v_fma_f32 v12, v61, v13, -v3
	v_fmac_f32_e32 v43, v63, v18
	v_fma_f32 v13, v63, v19, -v57
	v_mul_f32_e32 v18, v66, v15
	v_mul_f32_e32 v3, v66, v14
	;; [unrolled: 1-line block ×4, first 2 shown]
	v_add_f32_e32 v57, v47, v35
	v_add_f32_e32 v58, v35, v53
	;; [unrolled: 1-line block ×3, first 2 shown]
	v_sub_f32_e32 v59, v2, v17
	v_add_f32_e32 v60, v48, v2
	v_fmac_f32_e32 v18, v65, v14
	v_fma_f32 v14, v65, v15, -v3
	v_fmac_f32_e32 v19, v67, v8
	v_fma_f32 v15, v67, v9, -v54
	v_mul_f32_e32 v54, v70, v5
	v_mul_f32_e32 v8, v70, v4
	;; [unrolled: 1-line block ×4, first 2 shown]
	v_add_f32_e32 v2, v57, v53
	v_fma_f32 v47, -0.5, v58, v47
	v_sub_f32_e32 v57, v12, v13
	v_add_f32_e32 v58, v46, v12
	v_add_f32_e32 v12, v12, v13
	v_sub_f32_e32 v35, v35, v53
	v_fmac_f32_e32 v48, -0.5, v61
	v_add_f32_e32 v3, v60, v17
	v_add_f32_e32 v17, v45, v16
	;; [unrolled: 1-line block ×3, first 2 shown]
	v_sub_f32_e32 v16, v16, v43
	v_fmac_f32_e32 v54, v69, v4
	v_fma_f32 v60, v69, v5, -v8
	v_fmac_f32_e32 v62, v10, v71
	v_fma_f32 v10, v11, v71, -v9
	v_mul_f32_e32 v11, v7, v74
	v_mul_f32_e32 v61, v6, v74
	;; [unrolled: 1-line block ×4, first 2 shown]
	v_fmac_f32_e32 v46, -0.5, v12
	v_add_f32_e32 v12, v41, v18
	v_add_f32_e32 v9, v58, v13
	;; [unrolled: 1-line block ×3, first 2 shown]
	v_fmamk_f32 v5, v35, 0x3f5db3d7, v48
	v_fmac_f32_e32 v48, 0xbf5db3d7, v35
	v_add_f32_e32 v35, v42, v14
	v_fmamk_f32 v4, v59, 0xbf5db3d7, v47
	v_add_f32_e32 v8, v17, v43
	v_sub_f32_e32 v17, v14, v15
	v_add_f32_e32 v14, v14, v15
	ds_write_b64 v29, v[2:3]
	v_fmac_f32_e32 v11, v6, v73
	v_fma_f32 v43, v7, v73, -v61
	v_fmac_f32_e32 v63, v49, v75
	v_fma_f32 v49, v50, v75, -v64
	v_fmamk_f32 v3, v16, 0x3f5db3d7, v46
	v_fmac_f32_e32 v46, 0xbf5db3d7, v16
	v_add_f32_e32 v6, v12, v19
	v_add_f32_e32 v12, v39, v54
	;; [unrolled: 1-line block ×3, first 2 shown]
	v_fmac_f32_e32 v47, 0x3f5db3d7, v59
	v_fma_f32 v45, -0.5, v53, v45
	v_fma_f32 v41, -0.5, v13, v41
	v_add_f32_e32 v13, v54, v62
	v_add_f32_e32 v7, v35, v15
	;; [unrolled: 1-line block ×3, first 2 shown]
	v_sub_f32_e32 v18, v18, v19
	v_fmac_f32_e32 v42, -0.5, v14
	ds_write_b64 v29, v[4:5] offset:3200
	ds_write_b64 v29, v[47:48] offset:6400
	ds_write_b64 v56, v[8:9]
	v_add_f32_e32 v8, v12, v62
	v_fmac_f32_e32 v40, -0.5, v16
	v_add_f32_e32 v12, v11, v63
	v_add_f32_e32 v16, v43, v49
	v_fmamk_f32 v2, v57, 0xbf5db3d7, v45
	v_sub_f32_e32 v14, v60, v10
	v_sub_f32_e32 v19, v54, v62
	v_fma_f32 v39, -0.5, v13, v39
	v_fmac_f32_e32 v45, 0x3f5db3d7, v57
	v_add_f32_e32 v9, v15, v10
	v_add_f32_e32 v10, v0, v11
	;; [unrolled: 1-line block ×3, first 2 shown]
	v_fmamk_f32 v4, v17, 0xbf5db3d7, v41
	v_fmamk_f32 v5, v18, 0x3f5db3d7, v42
	v_sub_f32_e32 v13, v43, v49
	v_sub_f32_e32 v11, v11, v63
	v_fma_f32 v0, -0.5, v12, v0
	v_fmac_f32_e32 v1, -0.5, v16
	v_fmac_f32_e32 v41, 0x3f5db3d7, v17
	v_fmac_f32_e32 v42, 0xbf5db3d7, v18
	ds_write_b64 v56, v[2:3] offset:3200
	ds_write_b64 v56, v[45:46] offset:6400
	ds_write_b64 v55, v[6:7]
	v_fmamk_f32 v2, v14, 0xbf5db3d7, v39
	v_fmamk_f32 v3, v19, 0x3f5db3d7, v40
	v_fmac_f32_e32 v39, 0x3f5db3d7, v14
	v_fmac_f32_e32 v40, 0xbf5db3d7, v19
	v_add_f32_e32 v6, v10, v63
	v_add_f32_e32 v7, v15, v49
	ds_write_b64 v55, v[4:5] offset:3200
	ds_write_b64 v55, v[41:42] offset:6400
	ds_write_b64 v25, v[8:9]
	v_fmamk_f32 v4, v13, 0xbf5db3d7, v0
	v_fmamk_f32 v5, v11, 0x3f5db3d7, v1
	v_fmac_f32_e32 v0, 0x3f5db3d7, v13
	v_fmac_f32_e32 v1, 0xbf5db3d7, v11
	ds_write_b64 v25, v[2:3] offset:3200
	ds_write_b64 v25, v[39:40] offset:6400
	ds_write_b64 v29, v[6:7] offset:2400
	ds_write_b64 v27, v[4:5] offset:5600
	ds_write_b64 v27, v[0:1] offset:8800
	s_and_saveexec_b32 s1, s0
	s_cbranch_execz .LBB0_22
; %bb.21:
	v_subrev_nc_u32_e32 v0, 25, v28
	v_cndmask_b32_e64 v0, v0, v26, s0
	v_lshlrev_b32_e32 v43, 1, v0
	v_lshlrev_b64 v[0:1], 3, v[43:44]
	v_add_co_u32 v0, s0, s8, v0
	v_add_co_ci_u32_e64 v1, s0, s9, v1, s0
	v_add_co_u32 v0, s0, 0x800, v0
	v_add_co_ci_u32_e64 v1, s0, 0, v1, s0
	global_load_dwordx4 v[0:3], v[0:1], off offset:1112
	s_waitcnt vmcnt(0)
	v_mul_f32_e32 v4, v20, v1
	v_mul_f32_e32 v5, v22, v3
	;; [unrolled: 1-line block ×4, first 2 shown]
	v_fma_f32 v3, v21, v0, -v4
	v_fma_f32 v4, v23, v2, -v5
	v_fmac_f32_e32 v1, v20, v0
	v_fmac_f32_e32 v6, v22, v2
	v_add_f32_e32 v5, v38, v3
	v_add_f32_e32 v0, v3, v4
	;; [unrolled: 1-line block ×4, first 2 shown]
	v_sub_f32_e32 v7, v1, v6
	v_sub_f32_e32 v9, v3, v4
	v_fma_f32 v1, -0.5, v0, v38
	v_add_f32_e32 v3, v5, v4
	v_fma_f32 v0, -0.5, v2, v37
	v_add_f32_e32 v2, v8, v6
	v_fmamk_f32 v5, v7, 0xbf5db3d7, v1
	v_fmac_f32_e32 v1, 0x3f5db3d7, v7
	v_fmamk_f32 v4, v9, 0x3f5db3d7, v0
	v_fmac_f32_e32 v0, 0xbf5db3d7, v9
	ds_write_b64 v29, v[2:3] offset:3000
	ds_write_b64 v29, v[0:1] offset:6200
	;; [unrolled: 1-line block ×3, first 2 shown]
.LBB0_22:
	s_or_b32 exec_lo, exec_lo, s1
	s_waitcnt lgkmcnt(0)
	s_barrier
	buffer_gl0_inv
	ds_read_b64 v[2:3], v51
	v_sub_nc_u32_e32 v4, v52, v31
	s_add_u32 s1, s8, 0x2558
	s_addc_u32 s4, s9, 0
	s_mov_b32 s5, exec_lo
                                        ; implicit-def: $vgpr0
                                        ; implicit-def: $vgpr5
                                        ; implicit-def: $vgpr6
	v_cmpx_ne_u32_e32 0, v28
	s_xor_b32 s5, exec_lo, s5
	s_cbranch_execz .LBB0_24
; %bb.23:
	v_mov_b32_e32 v29, 0
	v_lshlrev_b64 v[0:1], 3, v[28:29]
	v_add_co_u32 v0, s0, s1, v0
	v_add_co_ci_u32_e64 v1, s0, s4, v1, s0
	global_load_dwordx2 v[7:8], v[0:1], off
	ds_read_b64 v[0:1], v4 offset:9600
	s_waitcnt lgkmcnt(0)
	v_sub_f32_e32 v5, v2, v0
	v_add_f32_e32 v6, v1, v3
	v_sub_f32_e32 v1, v3, v1
	v_add_f32_e32 v0, v0, v2
	v_mul_f32_e32 v3, 0.5, v5
	v_mul_f32_e32 v2, 0.5, v6
	;; [unrolled: 1-line block ×3, first 2 shown]
	s_waitcnt vmcnt(0)
	v_mul_f32_e32 v6, v8, v3
	v_fma_f32 v9, v2, v8, v1
	v_fma_f32 v1, v2, v8, -v1
	v_fma_f32 v5, 0.5, v0, v6
	v_fma_f32 v0, v0, 0.5, -v6
	v_fma_f32 v6, -v7, v3, v9
	v_fma_f32 v1, -v7, v3, v1
	v_fmac_f32_e32 v5, v7, v2
	v_fma_f32 v0, -v7, v2, v0
                                        ; implicit-def: $vgpr2_vgpr3
.LBB0_24:
	s_andn2_saveexec_b32 s0, s5
	s_cbranch_execz .LBB0_26
; %bb.25:
	ds_read_b32 v1, v52 offset:4804
	s_waitcnt lgkmcnt(1)
	v_add_f32_e32 v5, v2, v3
	v_sub_f32_e32 v0, v2, v3
	v_mov_b32_e32 v6, 0
	s_waitcnt lgkmcnt(0)
	v_xor_b32_e32 v2, 0x80000000, v1
	v_mov_b32_e32 v1, 0
	ds_write_b32 v52, v2 offset:4804
.LBB0_26:
	s_or_b32 exec_lo, exec_lo, s0
	v_mov_b32_e32 v31, 0
	v_lshl_add_u32 v19, v30, 3, v52
	s_waitcnt lgkmcnt(0)
	v_lshlrev_b64 v[2:3], 3, v[30:31]
	v_mov_b32_e32 v37, v31
	v_mov_b32_e32 v35, v31
	;; [unrolled: 1-line block ×4, first 2 shown]
	v_add_nc_u32_e32 v30, 0x1c2, v28
	v_add_co_u32 v2, s0, s1, v2
	v_add_co_ci_u32_e64 v3, s0, s4, v3, s0
	v_lshlrev_b64 v[7:8], 3, v[36:37]
	v_lshlrev_b64 v[9:10], 3, v[34:35]
	;; [unrolled: 1-line block ×3, first 2 shown]
	global_load_dwordx2 v[2:3], v[2:3], off
	v_lshlrev_b64 v[13:14], 3, v[26:27]
	v_lshlrev_b64 v[15:16], 3, v[30:31]
	v_add_co_u32 v7, s0, s1, v7
	v_add_co_ci_u32_e64 v8, s0, s4, v8, s0
	v_add_co_u32 v9, s0, s1, v9
	v_add_co_ci_u32_e64 v10, s0, s4, v10, s0
	global_load_dwordx2 v[7:8], v[7:8], off
	v_add_co_u32 v11, s0, s1, v11
	global_load_dwordx2 v[9:10], v[9:10], off
	v_add_co_ci_u32_e64 v12, s0, s4, v12, s0
	v_add_co_u32 v13, s0, s1, v13
	v_add_co_ci_u32_e64 v14, s0, s4, v14, s0
	global_load_dwordx2 v[11:12], v[11:12], off
	v_add_co_u32 v15, s0, s1, v15
	global_load_dwordx2 v[13:14], v[13:14], off
	v_add_co_ci_u32_e64 v16, s0, s4, v16, s0
	v_add_nc_u32_e32 v30, 0x20d, v28
	global_load_dwordx2 v[15:16], v[15:16], off
	ds_write2_b32 v51, v5, v6 offset1:1
	ds_write_b64 v4, v[0:1] offset:9600
	v_lshlrev_b64 v[17:18], 3, v[30:31]
	v_add_co_u32 v17, s0, s1, v17
	v_add_co_ci_u32_e64 v18, s0, s4, v18, s0
	global_load_dwordx2 v[17:18], v[17:18], off
	ds_read_b64 v[0:1], v19
	ds_read_b64 v[5:6], v4 offset:9000
	s_waitcnt lgkmcnt(0)
	v_sub_f32_e32 v20, v0, v5
	v_add_f32_e32 v21, v1, v6
	v_sub_f32_e32 v1, v1, v6
	v_add_f32_e32 v0, v0, v5
	v_mul_f32_e32 v6, 0.5, v20
	v_mul_f32_e32 v20, 0.5, v21
	;; [unrolled: 1-line block ×3, first 2 shown]
	s_waitcnt vmcnt(6)
	v_mul_f32_e32 v5, v3, v6
	v_fma_f32 v21, v20, v3, v1
	v_fma_f32 v1, v20, v3, -v1
	v_fma_f32 v3, 0.5, v0, v5
	v_fma_f32 v0, v0, 0.5, -v5
	v_fma_f32 v5, -v2, v6, v21
	v_fma_f32 v1, -v2, v6, v1
	v_lshl_add_u32 v6, v36, 3, v52
	v_fmac_f32_e32 v3, v2, v20
	v_fma_f32 v0, -v2, v20, v0
	ds_write2_b32 v19, v3, v5 offset1:1
	ds_write_b64 v4, v[0:1] offset:9000
	ds_read_b64 v[0:1], v6
	ds_read_b64 v[2:3], v4 offset:8400
	s_waitcnt lgkmcnt(0)
	v_sub_f32_e32 v5, v0, v2
	v_add_f32_e32 v19, v1, v3
	v_sub_f32_e32 v1, v1, v3
	v_add_f32_e32 v0, v0, v2
	v_mul_f32_e32 v3, 0.5, v5
	v_mul_f32_e32 v5, 0.5, v19
	;; [unrolled: 1-line block ×3, first 2 shown]
	s_waitcnt vmcnt(5)
	v_mul_f32_e32 v2, v8, v3
	v_fma_f32 v19, v5, v8, v1
	v_fma_f32 v1, v5, v8, -v1
	v_fma_f32 v8, 0.5, v0, v2
	v_fma_f32 v0, v0, 0.5, -v2
	v_fma_f32 v2, -v7, v3, v19
	v_fma_f32 v1, -v7, v3, v1
	v_fmac_f32_e32 v8, v7, v5
	v_fma_f32 v0, -v7, v5, v0
	v_lshl_add_u32 v5, v34, 3, v52
	ds_write2_b32 v6, v8, v2 offset1:1
	ds_write_b64 v4, v[0:1] offset:8400
	ds_read_b64 v[0:1], v5
	ds_read_b64 v[2:3], v4 offset:7800
	s_waitcnt lgkmcnt(0)
	v_sub_f32_e32 v6, v0, v2
	v_add_f32_e32 v7, v1, v3
	v_sub_f32_e32 v1, v1, v3
	v_add_f32_e32 v0, v0, v2
	v_mul_f32_e32 v3, 0.5, v6
	v_mul_f32_e32 v6, 0.5, v7
	;; [unrolled: 1-line block ×3, first 2 shown]
	s_waitcnt vmcnt(4)
	v_mul_f32_e32 v2, v10, v3
	v_fma_f32 v7, v6, v10, v1
	v_fma_f32 v1, v6, v10, -v1
	v_fma_f32 v8, 0.5, v0, v2
	v_fma_f32 v0, v0, 0.5, -v2
	v_fma_f32 v2, -v9, v3, v7
	v_fma_f32 v1, -v9, v3, v1
	v_fmac_f32_e32 v8, v9, v6
	v_fma_f32 v0, -v9, v6, v0
	ds_write2_b32 v5, v8, v2 offset1:1
	ds_write_b64 v4, v[0:1] offset:7800
	ds_read_b64 v[0:1], v51 offset:2400
	ds_read_b64 v[2:3], v4 offset:7200
	s_waitcnt lgkmcnt(0)
	v_sub_f32_e32 v5, v0, v2
	v_add_f32_e32 v6, v1, v3
	v_sub_f32_e32 v1, v1, v3
	v_add_f32_e32 v0, v0, v2
	v_mul_f32_e32 v3, 0.5, v5
	v_mul_f32_e32 v5, 0.5, v6
	;; [unrolled: 1-line block ×3, first 2 shown]
	s_waitcnt vmcnt(3)
	v_mul_f32_e32 v2, v12, v3
	v_fma_f32 v6, v5, v12, v1
	v_fma_f32 v1, v5, v12, -v1
	v_fma_f32 v7, 0.5, v0, v2
	v_fma_f32 v8, v0, 0.5, -v2
	v_add_nc_u32_e32 v0, 0x800, v51
	v_fma_f32 v6, -v11, v3, v6
	v_fma_f32 v2, -v11, v3, v1
	v_fmac_f32_e32 v7, v11, v5
	v_fma_f32 v1, -v11, v5, v8
	ds_write2_b32 v0, v7, v6 offset0:88 offset1:89
	ds_write_b64 v4, v[1:2] offset:7200
	ds_read_b64 v[1:2], v51 offset:3000
	ds_read_b64 v[5:6], v4 offset:6600
	s_waitcnt lgkmcnt(0)
	v_sub_f32_e32 v3, v1, v5
	v_add_f32_e32 v7, v2, v6
	v_sub_f32_e32 v2, v2, v6
	v_add_f32_e32 v1, v1, v5
	v_mul_f32_e32 v3, 0.5, v3
	v_mul_f32_e32 v6, 0.5, v7
	;; [unrolled: 1-line block ×3, first 2 shown]
	s_waitcnt vmcnt(2)
	v_mul_f32_e32 v5, v14, v3
	v_fma_f32 v7, v6, v14, v2
	v_fma_f32 v2, v6, v14, -v2
	v_fma_f32 v8, 0.5, v1, v5
	v_fma_f32 v1, v1, 0.5, -v5
	v_fma_f32 v5, -v13, v3, v7
	v_fma_f32 v2, -v13, v3, v2
	v_fmac_f32_e32 v8, v13, v6
	v_fma_f32 v1, -v13, v6, v1
	ds_write2_b32 v0, v8, v5 offset0:238 offset1:239
	ds_write_b64 v4, v[1:2] offset:6600
	ds_read_b64 v[1:2], v51 offset:3600
	ds_read_b64 v[5:6], v4 offset:6000
	s_waitcnt lgkmcnt(0)
	v_sub_f32_e32 v3, v1, v5
	v_add_f32_e32 v7, v2, v6
	v_sub_f32_e32 v2, v2, v6
	v_add_f32_e32 v1, v1, v5
	v_mul_f32_e32 v3, 0.5, v3
	v_mul_f32_e32 v6, 0.5, v7
	;; [unrolled: 1-line block ×3, first 2 shown]
	s_waitcnt vmcnt(1)
	v_mul_f32_e32 v5, v16, v3
	v_fma_f32 v7, v6, v16, v2
	v_fma_f32 v2, v6, v16, -v2
	v_fma_f32 v8, 0.5, v1, v5
	v_fma_f32 v5, v1, 0.5, -v5
	v_add_nc_u32_e32 v1, 0xc00, v51
	v_fma_f32 v7, -v15, v3, v7
	v_fma_f32 v3, -v15, v3, v2
	v_fmac_f32_e32 v8, v15, v6
	v_fma_f32 v2, -v15, v6, v5
	ds_write2_b32 v1, v8, v7 offset0:132 offset1:133
	ds_write_b64 v4, v[2:3] offset:6000
	ds_read_b64 v[2:3], v51 offset:4200
	ds_read_b64 v[5:6], v4 offset:5400
	s_waitcnt lgkmcnt(0)
	v_sub_f32_e32 v7, v2, v5
	v_add_f32_e32 v8, v3, v6
	v_sub_f32_e32 v3, v3, v6
	v_add_f32_e32 v2, v2, v5
	v_mul_f32_e32 v6, 0.5, v7
	v_mul_f32_e32 v7, 0.5, v8
	;; [unrolled: 1-line block ×3, first 2 shown]
	s_waitcnt vmcnt(0)
	v_mul_f32_e32 v5, v18, v6
	v_fma_f32 v8, v7, v18, v3
	v_fma_f32 v3, v7, v18, -v3
	v_fma_f32 v9, 0.5, v2, v5
	v_fma_f32 v2, v2, 0.5, -v5
	v_add_nc_u32_e32 v5, 0x1000, v51
	v_fma_f32 v8, -v17, v6, v8
	v_fma_f32 v3, -v17, v6, v3
	v_fmac_f32_e32 v9, v17, v7
	v_fma_f32 v2, -v17, v7, v2
	ds_write2_b32 v5, v9, v8 offset0:26 offset1:27
	ds_write_b64 v4, v[2:3] offset:5400
	s_waitcnt lgkmcnt(0)
	s_barrier
	buffer_gl0_inv
	s_and_saveexec_b32 s0, vcc_lo
	s_cbranch_execz .LBB0_29
; %bb.27:
	v_mov_b32_e32 v29, v31
	ds_read2_b64 v[6:9], v51 offset1:75
	ds_read2_b64 v[10:13], v51 offset0:150 offset1:225
	v_add_co_u32 v2, vcc_lo, s2, v32
	v_lshlrev_b64 v[14:15], 3, v[28:29]
	v_add_co_ci_u32_e32 v3, vcc_lo, s3, v33, vcc_lo
	v_add_nc_u32_e32 v4, 0x1400, v51
	v_add_co_u32 v26, vcc_lo, v2, v14
	v_add_co_ci_u32_e32 v27, vcc_lo, v3, v15, vcc_lo
	ds_read2_b64 v[14:17], v0 offset0:44 offset1:119
	ds_read2_b64 v[18:21], v1 offset0:66 offset1:141
	;; [unrolled: 1-line block ×4, first 2 shown]
	v_add_nc_u32_e32 v4, 0x1800, v51
	v_add_co_u32 v0, vcc_lo, 0x800, v26
	v_add_co_ci_u32_e32 v1, vcc_lo, 0, v27, vcc_lo
	s_waitcnt lgkmcnt(5)
	global_store_dwordx2 v[26:27], v[6:7], off
	global_store_dwordx2 v[26:27], v[8:9], off offset:600
	s_waitcnt lgkmcnt(4)
	global_store_dwordx2 v[26:27], v[10:11], off offset:1200
	global_store_dwordx2 v[26:27], v[12:13], off offset:1800
	v_add_nc_u32_e32 v8, 0x2000, v51
	ds_read2_b64 v[4:7], v4 offset0:132 offset1:207
	v_add_co_u32 v12, vcc_lo, 0x1000, v26
	v_add_co_ci_u32_e32 v13, vcc_lo, 0, v27, vcc_lo
	ds_read2_b64 v[8:11], v8 offset0:26 offset1:101
	s_waitcnt lgkmcnt(5)
	global_store_dwordx2 v[0:1], v[14:15], off offset:352
	global_store_dwordx2 v[0:1], v[16:17], off offset:952
	s_waitcnt lgkmcnt(4)
	global_store_dwordx2 v[0:1], v[18:19], off offset:1552
	global_store_dwordx2 v[12:13], v[20:21], off offset:104
	;; [unrolled: 3-line block ×3, first 2 shown]
	s_waitcnt lgkmcnt(2)
	global_store_dwordx2 v[12:13], v[29:30], off offset:1904
	v_add_co_u32 v0, vcc_lo, 0x1800, v26
	v_add_co_ci_u32_e32 v1, vcc_lo, 0, v27, vcc_lo
	v_add_co_u32 v12, vcc_lo, 0x2000, v26
	v_add_co_ci_u32_e32 v13, vcc_lo, 0, v27, vcc_lo
	v_cmp_eq_u32_e32 vcc_lo, 0x4a, v28
	global_store_dwordx2 v[0:1], v[31:32], off offset:456
	s_waitcnt lgkmcnt(1)
	global_store_dwordx2 v[0:1], v[4:5], off offset:1056
	global_store_dwordx2 v[0:1], v[6:7], off offset:1656
	s_waitcnt lgkmcnt(0)
	global_store_dwordx2 v[12:13], v[8:9], off offset:208
	global_store_dwordx2 v[12:13], v[10:11], off offset:808
	s_and_b32 exec_lo, exec_lo, vcc_lo
	s_cbranch_execz .LBB0_29
; %bb.28:
	ds_read_b64 v[0:1], v51 offset:9008
	v_add_co_u32 v2, vcc_lo, 0x2000, v2
	v_add_co_ci_u32_e32 v3, vcc_lo, 0, v3, vcc_lo
	s_waitcnt lgkmcnt(0)
	global_store_dwordx2 v[2:3], v[0:1], off offset:1408
.LBB0_29:
	s_endpgm
	.section	.rodata,"a",@progbits
	.p2align	6, 0x0
	.amdhsa_kernel fft_rtc_back_len1200_factors_5_5_16_3_wgs_225_tpt_75_halfLds_sp_ip_CI_unitstride_sbrr_R2C_dirReg
		.amdhsa_group_segment_fixed_size 0
		.amdhsa_private_segment_fixed_size 0
		.amdhsa_kernarg_size 88
		.amdhsa_user_sgpr_count 6
		.amdhsa_user_sgpr_private_segment_buffer 1
		.amdhsa_user_sgpr_dispatch_ptr 0
		.amdhsa_user_sgpr_queue_ptr 0
		.amdhsa_user_sgpr_kernarg_segment_ptr 1
		.amdhsa_user_sgpr_dispatch_id 0
		.amdhsa_user_sgpr_flat_scratch_init 0
		.amdhsa_user_sgpr_private_segment_size 0
		.amdhsa_wavefront_size32 1
		.amdhsa_uses_dynamic_stack 0
		.amdhsa_system_sgpr_private_segment_wavefront_offset 0
		.amdhsa_system_sgpr_workgroup_id_x 1
		.amdhsa_system_sgpr_workgroup_id_y 0
		.amdhsa_system_sgpr_workgroup_id_z 0
		.amdhsa_system_sgpr_workgroup_info 0
		.amdhsa_system_vgpr_workitem_id 0
		.amdhsa_next_free_vgpr 125
		.amdhsa_next_free_sgpr 21
		.amdhsa_reserve_vcc 1
		.amdhsa_reserve_flat_scratch 0
		.amdhsa_float_round_mode_32 0
		.amdhsa_float_round_mode_16_64 0
		.amdhsa_float_denorm_mode_32 3
		.amdhsa_float_denorm_mode_16_64 3
		.amdhsa_dx10_clamp 1
		.amdhsa_ieee_mode 1
		.amdhsa_fp16_overflow 0
		.amdhsa_workgroup_processor_mode 1
		.amdhsa_memory_ordered 1
		.amdhsa_forward_progress 0
		.amdhsa_shared_vgpr_count 0
		.amdhsa_exception_fp_ieee_invalid_op 0
		.amdhsa_exception_fp_denorm_src 0
		.amdhsa_exception_fp_ieee_div_zero 0
		.amdhsa_exception_fp_ieee_overflow 0
		.amdhsa_exception_fp_ieee_underflow 0
		.amdhsa_exception_fp_ieee_inexact 0
		.amdhsa_exception_int_div_zero 0
	.end_amdhsa_kernel
	.text
.Lfunc_end0:
	.size	fft_rtc_back_len1200_factors_5_5_16_3_wgs_225_tpt_75_halfLds_sp_ip_CI_unitstride_sbrr_R2C_dirReg, .Lfunc_end0-fft_rtc_back_len1200_factors_5_5_16_3_wgs_225_tpt_75_halfLds_sp_ip_CI_unitstride_sbrr_R2C_dirReg
                                        ; -- End function
	.section	.AMDGPU.csdata,"",@progbits
; Kernel info:
; codeLenInByte = 10920
; NumSgprs: 23
; NumVgprs: 125
; ScratchSize: 0
; MemoryBound: 0
; FloatMode: 240
; IeeeMode: 1
; LDSByteSize: 0 bytes/workgroup (compile time only)
; SGPRBlocks: 2
; VGPRBlocks: 15
; NumSGPRsForWavesPerEU: 23
; NumVGPRsForWavesPerEU: 125
; Occupancy: 8
; WaveLimiterHint : 1
; COMPUTE_PGM_RSRC2:SCRATCH_EN: 0
; COMPUTE_PGM_RSRC2:USER_SGPR: 6
; COMPUTE_PGM_RSRC2:TRAP_HANDLER: 0
; COMPUTE_PGM_RSRC2:TGID_X_EN: 1
; COMPUTE_PGM_RSRC2:TGID_Y_EN: 0
; COMPUTE_PGM_RSRC2:TGID_Z_EN: 0
; COMPUTE_PGM_RSRC2:TIDIG_COMP_CNT: 0
	.text
	.p2alignl 6, 3214868480
	.fill 48, 4, 3214868480
	.type	__hip_cuid_75f05d92406151f7,@object ; @__hip_cuid_75f05d92406151f7
	.section	.bss,"aw",@nobits
	.globl	__hip_cuid_75f05d92406151f7
__hip_cuid_75f05d92406151f7:
	.byte	0                               ; 0x0
	.size	__hip_cuid_75f05d92406151f7, 1

	.ident	"AMD clang version 19.0.0git (https://github.com/RadeonOpenCompute/llvm-project roc-6.4.0 25133 c7fe45cf4b819c5991fe208aaa96edf142730f1d)"
	.section	".note.GNU-stack","",@progbits
	.addrsig
	.addrsig_sym __hip_cuid_75f05d92406151f7
	.amdgpu_metadata
---
amdhsa.kernels:
  - .args:
      - .actual_access:  read_only
        .address_space:  global
        .offset:         0
        .size:           8
        .value_kind:     global_buffer
      - .offset:         8
        .size:           8
        .value_kind:     by_value
      - .actual_access:  read_only
        .address_space:  global
        .offset:         16
        .size:           8
        .value_kind:     global_buffer
      - .actual_access:  read_only
        .address_space:  global
        .offset:         24
        .size:           8
        .value_kind:     global_buffer
      - .offset:         32
        .size:           8
        .value_kind:     by_value
      - .actual_access:  read_only
        .address_space:  global
        .offset:         40
        .size:           8
        .value_kind:     global_buffer
      - .actual_access:  read_only
        .address_space:  global
        .offset:         48
        .size:           8
        .value_kind:     global_buffer
      - .offset:         56
        .size:           4
        .value_kind:     by_value
      - .actual_access:  read_only
        .address_space:  global
        .offset:         64
        .size:           8
        .value_kind:     global_buffer
      - .actual_access:  read_only
        .address_space:  global
        .offset:         72
        .size:           8
        .value_kind:     global_buffer
      - .address_space:  global
        .offset:         80
        .size:           8
        .value_kind:     global_buffer
    .group_segment_fixed_size: 0
    .kernarg_segment_align: 8
    .kernarg_segment_size: 88
    .language:       OpenCL C
    .language_version:
      - 2
      - 0
    .max_flat_workgroup_size: 225
    .name:           fft_rtc_back_len1200_factors_5_5_16_3_wgs_225_tpt_75_halfLds_sp_ip_CI_unitstride_sbrr_R2C_dirReg
    .private_segment_fixed_size: 0
    .sgpr_count:     23
    .sgpr_spill_count: 0
    .symbol:         fft_rtc_back_len1200_factors_5_5_16_3_wgs_225_tpt_75_halfLds_sp_ip_CI_unitstride_sbrr_R2C_dirReg.kd
    .uniform_work_group_size: 1
    .uses_dynamic_stack: false
    .vgpr_count:     125
    .vgpr_spill_count: 0
    .wavefront_size: 32
    .workgroup_processor_mode: 1
amdhsa.target:   amdgcn-amd-amdhsa--gfx1030
amdhsa.version:
  - 1
  - 2
...

	.end_amdgpu_metadata
